;; amdgpu-corpus repo=ROCm/rocFFT kind=compiled arch=gfx906 opt=O3
	.text
	.amdgcn_target "amdgcn-amd-amdhsa--gfx906"
	.amdhsa_code_object_version 6
	.protected	fft_rtc_back_len64_factors_4_4_2_2_wgs_64_tpt_4_halfLds_dim2_dp_op_CI_CI_sbcc_twdbase6_3step_dirReg_intrinsicReadWrite ; -- Begin function fft_rtc_back_len64_factors_4_4_2_2_wgs_64_tpt_4_halfLds_dim2_dp_op_CI_CI_sbcc_twdbase6_3step_dirReg_intrinsicReadWrite
	.globl	fft_rtc_back_len64_factors_4_4_2_2_wgs_64_tpt_4_halfLds_dim2_dp_op_CI_CI_sbcc_twdbase6_3step_dirReg_intrinsicReadWrite
	.p2align	8
	.type	fft_rtc_back_len64_factors_4_4_2_2_wgs_64_tpt_4_halfLds_dim2_dp_op_CI_CI_sbcc_twdbase6_3step_dirReg_intrinsicReadWrite,@function
fft_rtc_back_len64_factors_4_4_2_2_wgs_64_tpt_4_halfLds_dim2_dp_op_CI_CI_sbcc_twdbase6_3step_dirReg_intrinsicReadWrite: ; @fft_rtc_back_len64_factors_4_4_2_2_wgs_64_tpt_4_halfLds_dim2_dp_op_CI_CI_sbcc_twdbase6_3step_dirReg_intrinsicReadWrite
; %bb.0:
	s_load_dwordx2 s[20:21], s[4:5], 0x0
	s_load_dwordx4 s[16:19], s[4:5], 0x10
	s_load_dwordx4 s[8:11], s[4:5], 0x58
	s_load_dwordx2 s[2:3], s[4:5], 0x20
	s_movk_i32 s0, 0xc0
	v_cmp_gt_u32_e32 vcc, s0, v0
	s_and_saveexec_b64 s[12:13], vcc
	s_cbranch_execz .LBB0_3
; %bb.1:
	s_load_dwordx2 s[0:1], s[4:5], 0x8
	v_lshlrev_b32_e32 v5, 4, v0
	v_or_b32_e32 v1, 0xffffffc0, v0
	v_mov_b32_e32 v2, -1
	s_mov_b64 s[4:5], 0x7f
	s_waitcnt lgkmcnt(0)
	v_mov_b32_e32 v4, s1
	v_add_co_u32_e32 v3, vcc, s0, v5
	v_add_u32_e32 v5, 0, v5
	v_addc_co_u32_e32 v4, vcc, 0, v4, vcc
	v_add_u32_e32 v5, 0x2000, v5
	s_mov_b64 s[14:15], 0
.LBB0_2:                                ; =>This Inner Loop Header: Depth=1
	global_load_dwordx4 v[6:9], v[3:4], off
	v_add_co_u32_e32 v1, vcc, 64, v1
	v_addc_co_u32_e32 v2, vcc, 0, v2, vcc
	v_cmp_lt_u64_e64 s[0:1], s[4:5], v[1:2]
	v_add_co_u32_e32 v3, vcc, 0x400, v3
	v_addc_co_u32_e32 v4, vcc, 0, v4, vcc
	s_or_b64 s[14:15], s[0:1], s[14:15]
	s_waitcnt vmcnt(0)
	ds_write2_b64 v5, v[6:7], v[8:9] offset1:1
	v_add_u32_e32 v5, 0x400, v5
	s_andn2_b64 exec, exec, s[14:15]
	s_cbranch_execnz .LBB0_2
.LBB0_3:
	s_or_b64 exec, exec, s[12:13]
	s_waitcnt lgkmcnt(0)
	s_load_dwordx2 s[0:1], s[16:17], 0x8
	s_load_dwordx2 s[22:23], s[18:19], 0x0
	;; [unrolled: 1-line block ×3, first 2 shown]
	s_mov_b32 s7, 0
	s_mov_b64 s[16:17], 0
	s_waitcnt lgkmcnt(0)
	s_add_u32 s12, s0, -1
	s_addc_u32 s13, s1, -1
	s_lshr_b64 s[12:13], s[12:13], 4
	s_add_u32 s12, s12, 1
	s_addc_u32 s13, s13, 0
	v_mov_b32_e32 v1, s12
	v_mov_b32_e32 v2, s13
	v_cmp_lt_u64_e32 vcc, s[6:7], v[1:2]
	s_cbranch_vccnz .LBB0_5
; %bb.4:
	v_cvt_f32_u32_e32 v1, s12
	s_sub_i32 s5, 0, s12
	v_rcp_iflag_f32_e32 v1, v1
	v_mul_f32_e32 v1, 0x4f7ffffe, v1
	v_cvt_u32_f32_e32 v1, v1
	v_readfirstlane_b32 s7, v1
	s_mul_i32 s5, s5, s7
	s_mul_hi_u32 s5, s7, s5
	s_add_i32 s7, s7, s5
	s_mul_hi_u32 s5, s6, s7
	s_mul_i32 s14, s5, s12
	s_sub_i32 s14, s6, s14
	s_add_i32 s7, s5, 1
	s_sub_i32 s15, s14, s12
	s_cmp_ge_u32 s14, s12
	s_cselect_b32 s5, s7, s5
	s_cselect_b32 s14, s15, s14
	s_add_i32 s7, s5, 1
	s_cmp_ge_u32 s14, s12
	s_cselect_b32 s16, s7, s5
.LBB0_5:
	s_mul_i32 s5, s16, s13
	s_mul_hi_u32 s7, s16, s12
	s_add_i32 s7, s7, s5
	s_mul_i32 s5, s16, s12
	s_load_dwordx4 s[24:27], s[18:19], 0x8
	s_load_dwordx4 s[12:15], s[2:3], 0x8
	s_sub_u32 s2, s6, s5
	s_subb_u32 s3, 0, s7
	s_lshl_b64 s[2:3], s[2:3], 4
	s_waitcnt lgkmcnt(0)
	s_mul_i32 s5, s2, s24
	s_mul_i32 s7, s26, s16
	;; [unrolled: 1-line block ×3, first 2 shown]
	s_add_i32 s7, s7, s5
	s_mul_i32 s5, s14, s16
	s_add_i32 s5, s5, s6
	v_and_b32_e32 v92, 15, v0
	v_lshrrev_b32_e32 v93, 4, v0
	v_or_b32_e32 v44, s2, v92
	s_add_u32 s2, s2, 16
	v_mul_lo_u32 v41, s24, v92
	v_mul_lo_u32 v3, s22, v93
	v_mov_b32_e32 v2, s1
	v_mov_b32_e32 v45, s3
	s_addc_u32 s3, s3, 0
	v_mov_b32_e32 v1, s0
	v_cmp_le_u64_e32 vcc, s[2:3], v[1:2]
	v_cmp_gt_u64_e64 s[0:1], s[0:1], v[44:45]
	v_add_lshl_u32 v1, v41, v3, 4
	s_or_b64 vcc, vcc, s[0:1]
	v_or_b32_e32 v84, 16, v93
	v_cndmask_b32_e32 v9, -1, v1, vcc
	v_mul_lo_u32 v1, s22, v84
	v_or_b32_e32 v94, 32, v93
	v_mul_lo_u32 v11, s22, v94
	v_or_b32_e32 v85, 48, v93
	;; [unrolled: 2-line block ×4, first 2 shown]
	s_lshl_b32 s6, s7, 4
	s_mov_b32 s3, 0x20000
	s_mov_b32 s2, -2
	s_mov_b32 s0, s8
	s_mov_b32 s1, s9
	v_add_lshl_u32 v1, v41, v1, 4
	v_mul_lo_u32 v20, s22, v86
	v_or_b32_e32 v96, 36, v93
	v_cndmask_b32_e32 v10, -1, v1, vcc
	buffer_load_dwordx4 v[1:4], v9, s[0:3], s6 offen
	buffer_load_dwordx4 v[5:8], v10, s[0:3], s6 offen
	v_add_lshl_u32 v9, v41, v11, 4
	v_mul_lo_u32 v27, s22, v96
	v_or_b32_e32 v87, 52, v93
	v_cndmask_b32_e32 v17, -1, v9, vcc
	v_add_lshl_u32 v9, v41, v12, 4
	v_mul_lo_u32 v28, s22, v87
	v_cndmask_b32_e32 v18, -1, v9, vcc
	buffer_load_dwordx4 v[9:12], v17, s[0:3], s6 offen
	buffer_load_dwordx4 v[13:16], v18, s[0:3], s6 offen
	v_add_lshl_u32 v17, v41, v19, 4
	v_cndmask_b32_e32 v25, -1, v17, vcc
	v_add_lshl_u32 v17, v41, v20, 4
	v_cndmask_b32_e32 v26, -1, v17, vcc
	buffer_load_dwordx4 v[17:20], v25, s[0:3], s6 offen
	buffer_load_dwordx4 v[21:24], v26, s[0:3], s6 offen
	v_add_lshl_u32 v25, v41, v27, 4
	v_cndmask_b32_e32 v33, -1, v25, vcc
	v_add_lshl_u32 v25, v41, v28, 4
	v_cndmask_b32_e32 v34, -1, v25, vcc
	buffer_load_dwordx4 v[25:28], v33, s[0:3], s6 offen
	buffer_load_dwordx4 v[29:32], v34, s[0:3], s6 offen
	v_or_b32_e32 v97, 8, v93
	v_mul_lo_u32 v35, s22, v97
	v_or_b32_e32 v88, 24, v93
	v_mul_lo_u32 v36, s22, v88
	;; [unrolled: 2-line block ×4, first 2 shown]
	v_or_b32_e32 v99, 12, v93
	v_add_lshl_u32 v33, v41, v35, 4
	v_mul_lo_u32 v53, s22, v99
	v_or_b32_e32 v90, 28, v93
	v_cndmask_b32_e32 v42, -1, v33, vcc
	v_add_lshl_u32 v33, v41, v36, 4
	v_mul_lo_u32 v54, s22, v90
	v_or_b32_e32 v100, 44, v93
	v_or_b32_e32 v89, 60, v93
	v_cndmask_b32_e32 v43, -1, v33, vcc
	buffer_load_dwordx4 v[33:36], v42, s[0:3], s6 offen
	buffer_load_dwordx4 v[37:40], v43, s[0:3], s6 offen
	v_add_lshl_u32 v42, v41, v45, 4
	v_mul_lo_u32 v61, s22, v100
	v_mul_lo_u32 v62, s22, v89
	v_cndmask_b32_e32 v42, -1, v42, vcc
	v_add_lshl_u32 v43, v41, v46, 4
	v_cndmask_b32_e32 v43, -1, v43, vcc
	buffer_load_dwordx4 v[45:48], v42, s[0:3], s6 offen
	buffer_load_dwordx4 v[49:52], v43, s[0:3], s6 offen
	v_add_lshl_u32 v42, v41, v53, 4
	v_cndmask_b32_e32 v42, -1, v42, vcc
	v_add_lshl_u32 v43, v41, v54, 4
	v_cndmask_b32_e32 v43, -1, v43, vcc
	buffer_load_dwordx4 v[53:56], v42, s[0:3], s6 offen
	buffer_load_dwordx4 v[57:60], v43, s[0:3], s6 offen
	v_add_lshl_u32 v42, v41, v61, 4
	v_add_lshl_u32 v41, v41, v62, 4
	v_cndmask_b32_e32 v42, -1, v42, vcc
	v_cndmask_b32_e32 v41, -1, v41, vcc
	buffer_load_dwordx4 v[61:64], v42, s[0:3], s6 offen
	buffer_load_dwordx4 v[65:68], v41, s[0:3], s6 offen
	s_movk_i32 s0, 0xfe80
	v_and_b32_e32 v83, 11, v88
	v_and_b32_e32 v119, 15, v90
	s_lshl_b32 s5, s5, 4
	s_mov_b32 s1, s11
	s_waitcnt vmcnt(13)
	v_add_f64 v[41:42], v[1:2], -v[9:10]
	v_add_f64 v[11:12], v[3:4], -v[11:12]
	s_waitcnt vmcnt(12)
	v_add_f64 v[9:10], v[5:6], -v[13:14]
	v_add_f64 v[13:14], v[7:8], -v[15:16]
	v_fma_f64 v[3:4], v[3:4], 2.0, -v[11:12]
	s_waitcnt vmcnt(9)
	v_add_f64 v[15:16], v[17:18], -v[25:26]
	v_add_f64 v[25:26], v[19:20], -v[27:28]
	s_waitcnt vmcnt(8)
	v_add_f64 v[27:28], v[21:22], -v[29:30]
	v_add_f64 v[29:30], v[23:24], -v[31:32]
	v_fma_f64 v[31:32], v[1:2], 2.0, -v[41:42]
	v_fma_f64 v[1:2], v[5:6], 2.0, -v[9:10]
	;; [unrolled: 1-line block ×3, first 2 shown]
	v_add_f64 v[9:10], v[11:12], -v[9:10]
	v_fma_f64 v[69:70], v[17:18], 2.0, -v[15:16]
	v_fma_f64 v[19:20], v[19:20], 2.0, -v[25:26]
	;; [unrolled: 1-line block ×4, first 2 shown]
	v_add_f64 v[79:80], v[15:16], v[29:30]
	v_add_f64 v[71:72], v[31:32], -v[1:2]
	v_add_f64 v[7:8], v[3:4], -v[5:6]
	;; [unrolled: 1-line block ×3, first 2 shown]
	v_add_f64 v[73:74], v[41:42], v[13:14]
	v_add_f64 v[75:76], v[69:70], -v[17:18]
	v_add_f64 v[1:2], v[19:20], -v[21:22]
	v_fma_f64 v[17:18], v[11:12], 2.0, -v[9:10]
	v_fma_f64 v[77:78], v[31:32], 2.0, -v[71:72]
	;; [unrolled: 1-line block ×5, first 2 shown]
	s_waitcnt vmcnt(5)
	v_add_f64 v[23:24], v[33:34], -v[45:46]
	v_add_f64 v[29:30], v[35:36], -v[47:48]
	s_waitcnt vmcnt(4)
	v_add_f64 v[11:12], v[37:38], -v[49:50]
	v_add_f64 v[21:22], v[39:40], -v[51:52]
	v_fma_f64 v[3:4], v[19:20], 2.0, -v[1:2]
	v_fma_f64 v[69:70], v[69:70], 2.0, -v[75:76]
	;; [unrolled: 1-line block ×4, first 2 shown]
	s_waitcnt vmcnt(1)
	v_add_f64 v[45:46], v[53:54], -v[61:62]
	s_waitcnt vmcnt(0)
	v_add_f64 v[27:28], v[57:58], -v[65:66]
	v_add_f64 v[47:48], v[55:56], -v[63:64]
	;; [unrolled: 1-line block ×3, first 2 shown]
	v_fma_f64 v[61:62], v[35:36], 2.0, -v[29:30]
	v_fma_f64 v[33:34], v[39:40], 2.0, -v[21:22]
	;; [unrolled: 1-line block ×6, first 2 shown]
	v_add_f64 v[57:58], v[51:52], -v[19:20]
	v_add_f64 v[19:20], v[61:62], -v[33:34]
	v_add_f64 v[59:60], v[23:24], v[21:22]
	v_add_f64 v[21:22], v[29:30], -v[11:12]
	v_fma_f64 v[55:56], v[15:16], 2.0, -v[79:80]
	v_add_f64 v[33:34], v[37:38], -v[35:36]
	v_add_f64 v[35:36], v[45:46], v[49:50]
	v_add_f64 v[11:12], v[39:40], -v[53:54]
	v_add_f64 v[15:16], v[47:48], -v[27:28]
	v_fma_f64 v[49:50], v[51:52], 2.0, -v[57:58]
	v_fma_f64 v[51:52], v[23:24], 2.0, -v[59:60]
	;; [unrolled: 1-line block ×7, first 2 shown]
	v_lshlrev_b32_e32 v40, 9, v93
	v_lshlrev_b32_e32 v39, 3, v92
	v_add3_u32 v65, 0, v40, v39
	v_lshlrev_b32_e32 v40, 9, v95
	v_add3_u32 v66, 0, v40, v39
	;; [unrolled: 2-line block ×4, first 2 shown]
	v_fma_f64 v[25:26], v[47:48], 2.0, -v[15:16]
	ds_write2_b64 v65, v[77:78], v[41:42] offset1:16
	ds_write2_b64 v65, v[71:72], v[73:74] offset0:32 offset1:48
	ds_write2_b64 v66, v[69:70], v[55:56] offset1:16
	ds_write2_b64 v66, v[75:76], v[79:80] offset0:32 offset1:48
	;; [unrolled: 2-line block ×4, first 2 shown]
	v_lshlrev_b32_e32 v33, 7, v84
	v_mad_i32_i24 v36, v93, s0, v65
	v_add3_u32 v34, 0, v33, v39
	s_waitcnt lgkmcnt(0)
	; wave barrier
	s_waitcnt lgkmcnt(0)
	ds_read2st64_b64 v[40:43], v36 offset1:5
	v_mad_i32_i24 v35, v95, s0, v66
	v_mad_i32_i24 v37, v97, s0, v67
	ds_read2st64_b64 v[45:48], v36 offset0:8 offset1:9
	ds_read2st64_b64 v[49:52], v36 offset0:6 offset1:7
	;; [unrolled: 1-line block ×5, first 2 shown]
	v_mad_i32_i24 v38, v99, s0, v68
	ds_read_b64 v[69:70], v34
	ds_read_b64 v[71:72], v35
	;; [unrolled: 1-line block ×4, first 2 shown]
	s_waitcnt lgkmcnt(0)
	; wave barrier
	s_waitcnt lgkmcnt(0)
	ds_write2_b64 v65, v[13:14], v[17:18] offset1:16
	ds_write2_b64 v65, v[7:8], v[9:10] offset0:32 offset1:48
	ds_write2_b64 v66, v[3:4], v[31:32] offset1:16
	ds_write2_b64 v66, v[1:2], v[5:6] offset0:32 offset1:48
	;; [unrolled: 2-line block ×4, first 2 shown]
	v_mul_u32_u24_e32 v1, 3, v93
	v_lshlrev_b32_e32 v13, 4, v1
	s_waitcnt lgkmcnt(0)
	; wave barrier
	s_waitcnt lgkmcnt(0)
	global_load_dwordx4 v[1:4], v13, s[20:21]
	global_load_dwordx4 v[5:8], v13, s[20:21] offset:16
	global_load_dwordx4 v[9:12], v13, s[20:21] offset:32
	ds_read_b64 v[77:78], v34
	ds_read2st64_b64 v[13:16], v36 offset0:8 offset1:9
	ds_read2st64_b64 v[17:20], v36 offset0:6 offset1:7
	ds_read_b64 v[79:80], v35
	ds_read_b64 v[81:82], v37
	;; [unrolled: 1-line block ×3, first 2 shown]
	ds_read2st64_b64 v[21:24], v36 offset0:12 offset1:13
	ds_read2st64_b64 v[25:28], v36 offset0:10 offset1:11
	ds_read2st64_b64 v[29:32], v36 offset1:5
	ds_read2st64_b64 v[65:68], v36 offset0:14 offset1:15
	s_waitcnt lgkmcnt(0)
	; wave barrier
	s_waitcnt lgkmcnt(0)
	s_add_i32 s0, 0, 0x2000
	s_waitcnt vmcnt(2)
	v_mul_f64 v[103:104], v[77:78], v[3:4]
	v_mul_f64 v[105:106], v[69:70], v[3:4]
	s_waitcnt vmcnt(1)
	v_mul_f64 v[107:108], v[13:14], v[7:8]
	v_mul_f64 v[109:110], v[45:46], v[7:8]
	;; [unrolled: 3-line block ×3, first 2 shown]
	v_mul_f64 v[115:116], v[17:18], v[3:4]
	v_fma_f64 v[69:70], v[69:70], v[1:2], v[103:104]
	v_fma_f64 v[77:78], v[77:78], v[1:2], -v[105:106]
	v_mul_f64 v[103:104], v[53:54], v[11:12]
	v_mul_f64 v[105:106], v[31:32], v[3:4]
	v_fma_f64 v[45:46], v[45:46], v[5:6], v[107:108]
	v_fma_f64 v[13:14], v[13:14], v[5:6], -v[109:110]
	v_fma_f64 v[53:54], v[53:54], v[9:10], v[111:112]
	v_mul_f64 v[107:108], v[42:43], v[3:4]
	v_mul_f64 v[109:110], v[15:16], v[7:8]
	;; [unrolled: 1-line block ×3, first 2 shown]
	v_fma_f64 v[21:22], v[21:22], v[9:10], -v[103:104]
	v_mul_f64 v[103:104], v[55:56], v[11:12]
	v_fma_f64 v[42:43], v[42:43], v[1:2], v[105:106]
	v_mul_f64 v[105:106], v[19:20], v[3:4]
	v_fma_f64 v[55:56], v[55:56], v[9:10], v[113:114]
	v_fma_f64 v[31:32], v[31:32], v[1:2], -v[107:108]
	v_fma_f64 v[47:48], v[47:48], v[5:6], v[109:110]
	v_fma_f64 v[15:16], v[15:16], v[5:6], -v[111:112]
	v_mul_f64 v[107:108], v[25:26], v[7:8]
	v_fma_f64 v[23:24], v[23:24], v[9:10], -v[103:104]
	v_fma_f64 v[103:104], v[49:50], v[1:2], v[115:116]
	v_mul_f64 v[49:50], v[49:50], v[3:4]
	v_mul_f64 v[109:110], v[57:58], v[7:8]
	v_fma_f64 v[105:106], v[51:52], v[1:2], v[105:106]
	v_mul_f64 v[3:4], v[51:52], v[3:4]
	v_mul_f64 v[51:52], v[27:28], v[7:8]
	v_mul_f64 v[7:8], v[59:60], v[7:8]
	v_add_f64 v[15:16], v[79:80], -v[15:16]
	v_add_f64 v[23:24], v[31:32], -v[23:24]
	v_fma_f64 v[17:18], v[17:18], v[1:2], -v[49:50]
	v_fma_f64 v[49:50], v[57:58], v[5:6], v[107:108]
	v_fma_f64 v[25:26], v[25:26], v[5:6], -v[109:110]
	v_fma_f64 v[1:2], v[19:20], v[1:2], -v[3:4]
	v_fma_f64 v[3:4], v[59:60], v[5:6], v[51:52]
	v_fma_f64 v[5:6], v[27:28], v[5:6], -v[7:8]
	v_add_f64 v[7:8], v[40:41], -v[45:46]
	v_add_f64 v[19:20], v[69:70], -v[53:54]
	;; [unrolled: 1-line block ×4, first 2 shown]
	v_mul_f64 v[111:112], v[65:66], v[11:12]
	v_mul_f64 v[113:114], v[61:62], v[11:12]
	v_add_f64 v[13:14], v[29:30], -v[13:14]
	v_fma_f64 v[55:56], v[79:80], 2.0, -v[15:16]
	v_fma_f64 v[40:41], v[40:41], 2.0, -v[7:8]
	;; [unrolled: 1-line block ×6, first 2 shown]
	v_mul_f64 v[59:60], v[67:68], v[11:12]
	v_mul_f64 v[11:12], v[63:64], v[11:12]
	v_fma_f64 v[57:58], v[61:62], v[9:10], v[111:112]
	v_fma_f64 v[61:62], v[65:66], v[9:10], -v[113:114]
	v_add_f64 v[47:48], v[40:41], -v[47:48]
	v_add_f64 v[65:66], v[13:14], -v[19:20]
	;; [unrolled: 1-line block ×4, first 2 shown]
	v_fma_f64 v[42:43], v[63:64], v[9:10], v[59:60]
	v_fma_f64 v[9:10], v[67:68], v[9:10], -v[11:12]
	v_add_f64 v[21:22], v[77:78], -v[21:22]
	v_add_f64 v[49:50], v[73:74], -v[49:50]
	v_fma_f64 v[11:12], v[40:41], 2.0, -v[47:48]
	v_add_f64 v[25:26], v[81:82], -v[25:26]
	v_fma_f64 v[40:41], v[53:54], 2.0, -v[19:20]
	v_fma_f64 v[53:54], v[55:56], 2.0, -v[31:32]
	v_add_f64 v[55:56], v[103:104], -v[57:58]
	v_add_f64 v[57:58], v[17:18], -v[61:62]
	v_add_f64 v[3:4], v[75:76], -v[3:4]
	v_add_f64 v[5:6], v[101:102], -v[5:6]
	v_add_f64 v[42:43], v[105:106], -v[42:43]
	v_add_f64 v[9:10], v[1:2], -v[9:10]
	v_fma_f64 v[29:30], v[29:30], 2.0, -v[13:14]
	v_fma_f64 v[51:52], v[77:78], 2.0, -v[21:22]
	v_add_f64 v[45:46], v[15:16], -v[45:46]
	v_fma_f64 v[59:60], v[73:74], 2.0, -v[49:50]
	v_fma_f64 v[61:62], v[81:82], 2.0, -v[25:26]
	;; [unrolled: 1-line block ×8, first 2 shown]
	v_add_f64 v[21:22], v[7:8], v[21:22]
	v_add_f64 v[51:52], v[29:30], -v[51:52]
	v_add_f64 v[23:24], v[27:28], v[23:24]
	v_fma_f64 v[73:74], v[15:16], 2.0, -v[45:46]
	v_add_f64 v[15:16], v[59:60], -v[63:64]
	v_add_f64 v[63:64], v[61:62], -v[17:18]
	v_add_f64 v[17:18], v[49:50], v[57:58]
	v_add_f64 v[55:56], v[25:26], -v[55:56]
	v_add_f64 v[57:58], v[67:68], -v[71:72]
	;; [unrolled: 1-line block ×3, first 2 shown]
	v_add_f64 v[1:2], v[3:4], v[9:10]
	v_add_f64 v[42:43], v[5:6], -v[42:43]
	v_fma_f64 v[7:8], v[7:8], 2.0, -v[21:22]
	v_fma_f64 v[29:30], v[29:30], 2.0, -v[51:52]
	;; [unrolled: 1-line block ×11, first 2 shown]
	v_lshlrev_b32_e32 v5, 7, v93
	v_add3_u32 v9, 0, v5, v39
	v_lshlrev_b32_e32 v5, 7, v94
	v_fma_f64 v[61:62], v[61:62], 2.0, -v[63:64]
	v_add3_u32 v10, 0, v5, v39
	v_lshlrev_b32_e32 v5, 7, v86
	v_add3_u32 v6, 0, v5, v39
	v_lshlrev_b32_e32 v5, 7, v88
	ds_write2st64_b64 v9, v[11:12], v[7:8] offset1:1
	ds_write2st64_b64 v9, v[47:48], v[21:22] offset0:2 offset1:3
	ds_write2st64_b64 v9, v[40:41], v[27:28] offset0:4 offset1:5
	;; [unrolled: 1-line block ×3, first 2 shown]
	v_add3_u32 v7, 0, v5, v39
	v_lshlrev_b32_e32 v5, 7, v90
	v_add3_u32 v8, 0, v5, v39
	v_and_b32_e32 v5, 7, v86
	ds_write2st64_b64 v10, v[59:60], v[49:50] offset1:1
	ds_write2st64_b64 v10, v[15:16], v[17:18] offset0:2 offset1:3
	ds_write2st64_b64 v9, v[25:26], v[3:4] offset0:12 offset1:13
	;; [unrolled: 1-line block ×3, first 2 shown]
	s_waitcnt lgkmcnt(0)
	; wave barrier
	s_waitcnt lgkmcnt(0)
	ds_read2st64_b64 v[1:4], v36 offset1:8
	ds_read_b64 v[77:78], v37
	ds_read_b64 v[79:80], v38
	ds_read2st64_b64 v[15:18], v36 offset0:9 offset1:10
	ds_read2st64_b64 v[19:22], v36 offset0:11 offset1:12
	ds_read_b64 v[81:82], v35
	ds_read_b64 v[101:102], v34
	;; [unrolled: 1-line block ×5, first 2 shown]
	ds_read2st64_b64 v[23:26], v36 offset0:13 offset1:14
	ds_read_b64 v[109:110], v36 offset:7680
	s_waitcnt lgkmcnt(0)
	; wave barrier
	s_waitcnt lgkmcnt(0)
	ds_write2st64_b64 v9, v[29:30], v[13:14] offset1:1
	ds_write2st64_b64 v9, v[51:52], v[65:66] offset0:2 offset1:3
	ds_write2st64_b64 v9, v[53:54], v[73:74] offset0:4 offset1:5
	;; [unrolled: 1-line block ×3, first 2 shown]
	ds_write2st64_b64 v10, v[61:62], v[75:76] offset1:1
	ds_write2st64_b64 v10, v[63:64], v[55:56] offset0:2 offset1:3
	ds_write2st64_b64 v9, v[67:68], v[69:70] offset0:12 offset1:13
	;; [unrolled: 1-line block ×3, first 2 shown]
	v_lshlrev_b32_e32 v33, 4, v5
	v_lshlrev_b32_e32 v53, 4, v83
	s_waitcnt lgkmcnt(0)
	; wave barrier
	s_waitcnt lgkmcnt(0)
	global_load_dwordx4 v[27:30], v33, s[20:21] offset:192
	global_load_dwordx4 v[40:43], v53, s[20:21] offset:192
	v_lshlrev_b32_e32 v11, 4, v97
	v_and_b32_e32 v12, 48, v0
	v_lshlrev_b32_e32 v13, 4, v95
	v_lshlrev_b32_e32 v0, 4, v119
	global_load_dwordx2 v[31:32], v11, s[20:21] offset:192
	global_load_dwordx2 v[65:66], v13, s[20:21] offset:192
	global_load_dwordx4 v[45:48], v0, s[20:21] offset:192
	global_load_dwordx4 v[49:52], v12, s[20:21] offset:192
	v_lshlrev_b32_e32 v14, 4, v99
	global_load_dwordx2 v[67:68], v14, s[20:21] offset:192
	global_load_dwordx2 v[69:70], v33, s[20:21] offset:200
	;; [unrolled: 1-line block ×4, first 2 shown]
	ds_read2st64_b64 v[53:56], v36 offset0:9 offset1:10
	ds_read2st64_b64 v[57:60], v36 offset0:11 offset1:12
	ds_read2st64_b64 v[61:64], v36 offset1:8
	s_waitcnt vmcnt(9) lgkmcnt(2)
	v_mul_f64 v[75:76], v[53:54], v[29:30]
	s_waitcnt vmcnt(8)
	v_mul_f64 v[111:112], v[55:56], v[42:43]
	v_mul_f64 v[42:43], v[17:18], v[42:43]
	;; [unrolled: 1-line block ×3, first 2 shown]
	s_waitcnt vmcnt(5) lgkmcnt(1)
	v_mul_f64 v[113:114], v[57:58], v[47:48]
	s_waitcnt vmcnt(4)
	v_mul_f64 v[115:116], v[59:60], v[51:52]
	v_fma_f64 v[111:112], v[17:18], v[31:32], v[111:112]
	v_fma_f64 v[31:32], v[55:56], v[31:32], -v[42:43]
	v_mul_f64 v[42:43], v[19:20], v[47:48]
	v_fma_f64 v[75:76], v[15:16], v[65:66], v[75:76]
	ds_read2st64_b64 v[15:18], v36 offset0:13 offset1:14
	s_waitcnt lgkmcnt(1)
	v_mul_f64 v[117:118], v[63:64], v[51:52]
	v_fma_f64 v[29:30], v[53:54], v[65:66], -v[29:30]
	v_mul_f64 v[47:48], v[3:4], v[51:52]
	v_fma_f64 v[53:54], v[21:22], v[49:50], v[115:116]
	v_mul_f64 v[21:22], v[21:22], v[51:52]
	s_waitcnt vmcnt(3)
	v_fma_f64 v[42:43], v[57:58], v[67:68], -v[42:43]
	s_waitcnt vmcnt(2) lgkmcnt(0)
	v_mul_f64 v[57:58], v[15:16], v[69:70]
	ds_read_b64 v[51:52], v37
	ds_read_b64 v[55:56], v38
	ds_read_b64 v[65:66], v36 offset:7680
	v_fma_f64 v[19:20], v[19:20], v[67:68], v[113:114]
	v_fma_f64 v[3:4], v[3:4], v[49:50], v[117:118]
	v_fma_f64 v[47:48], v[63:64], v[49:50], -v[47:48]
	ds_read_b64 v[63:64], v35
	ds_read_b64 v[67:68], v34
	v_fma_f64 v[21:22], v[59:60], v[49:50], -v[21:22]
	v_mul_f64 v[49:50], v[23:24], v[69:70]
	s_waitcnt vmcnt(1)
	v_mul_f64 v[59:60], v[17:18], v[71:72]
	v_fma_f64 v[23:24], v[23:24], v[27:28], v[57:58]
	v_mul_f64 v[57:58], v[25:26], v[71:72]
	s_waitcnt vmcnt(0) lgkmcnt(2)
	v_mul_f64 v[69:70], v[65:66], v[73:74]
	v_mul_f64 v[71:72], v[109:110], v[73:74]
	v_add_f64 v[19:20], v[79:80], -v[19:20]
	v_add_f64 v[3:4], v[1:2], -v[3:4]
	v_fma_f64 v[15:16], v[15:16], v[27:28], -v[49:50]
	v_fma_f64 v[25:26], v[25:26], v[40:41], v[59:60]
	ds_read_b64 v[27:28], v6
	ds_read_b64 v[49:50], v7
	;; [unrolled: 1-line block ×3, first 2 shown]
	v_fma_f64 v[17:18], v[17:18], v[40:41], -v[57:58]
	v_fma_f64 v[40:41], v[109:110], v[45:46], v[69:70]
	v_fma_f64 v[45:46], v[65:66], v[45:46], -v[71:72]
	s_waitcnt lgkmcnt(4)
	v_add_f64 v[65:66], v[63:64], -v[29:30]
	v_add_f64 v[29:30], v[77:78], -v[111:112]
	;; [unrolled: 1-line block ×7, first 2 shown]
	v_fma_f64 v[0:1], v[1:2], 2.0, -v[3:4]
	s_waitcnt lgkmcnt(0)
	v_add_f64 v[45:46], v[59:60], -v[45:46]
	v_fma_f64 v[42:43], v[77:78], 2.0, -v[29:30]
	v_fma_f64 v[73:74], v[51:52], 2.0, -v[69:70]
	;; [unrolled: 1-line block ×3, first 2 shown]
	v_add_f64 v[77:78], v[67:68], -v[21:22]
	v_add_f64 v[21:22], v[103:104], -v[23:24]
	;; [unrolled: 1-line block ×4, first 2 shown]
	v_fma_f64 v[31:32], v[81:82], 2.0, -v[57:58]
	v_add_f64 v[81:82], v[49:50], -v[17:18]
	v_add_f64 v[17:18], v[107:108], -v[40:41]
	v_fma_f64 v[23:24], v[101:102], 2.0, -v[53:54]
	v_fma_f64 v[61:62], v[61:62], 2.0, -v[47:48]
	;; [unrolled: 1-line block ×7, first 2 shown]
	; wave barrier
	ds_write2st64_b64 v9, v[0:1], v[3:4] offset1:4
	v_lshlrev_b32_e32 v0, 7, v95
	v_fma_f64 v[75:76], v[55:56], 2.0, -v[71:72]
	v_add3_u32 v56, 0, v0, v39
	v_lshlrev_b32_e32 v0, 7, v97
	ds_write2st64_b64 v56, v[31:32], v[57:58] offset1:4
	v_add3_u32 v57, 0, v0, v39
	v_lshlrev_b32_e32 v0, 7, v99
	v_fma_f64 v[67:68], v[67:68], 2.0, -v[77:78]
	ds_write2st64_b64 v57, v[42:43], v[29:30] offset1:4
	v_add3_u32 v43, 0, v0, v39
	v_lshlrev_b32_e32 v0, 7, v5
	ds_write2st64_b64 v43, v[51:52], v[19:20] offset1:4
	ds_write2st64_b64 v10, v[23:24], v[53:54] offset1:4
	v_add3_u32 v19, 0, v0, v39
	v_lshlrev_b32_e32 v0, 7, v83
	v_fma_f64 v[49:50], v[49:50], 2.0, -v[81:82]
	v_add3_u32 v51, 0, v0, v39
	v_lshlrev_b32_e32 v0, 7, v119
	v_fma_f64 v[59:60], v[59:60], 2.0, -v[45:46]
	ds_write2st64_b64 v19, v[25:26], v[21:22] offset0:8 offset1:12
	ds_write2st64_b64 v51, v[27:28], v[15:16] offset0:8 offset1:12
	v_add3_u32 v15, 0, v0, v39
	ds_write2st64_b64 v15, v[40:41], v[17:18] offset0:8 offset1:12
	s_waitcnt lgkmcnt(0)
	; wave barrier
	s_waitcnt lgkmcnt(0)
	ds_read2st64_b64 v[20:23], v36 offset1:8
	ds_read_b64 v[2:3], v37
	ds_read_b64 v[0:1], v38
	ds_read2st64_b64 v[24:27], v36 offset0:9 offset1:10
	ds_read2st64_b64 v[28:31], v36 offset0:11 offset1:12
	ds_read_b64 v[4:5], v35
	ds_read_b64 v[16:17], v34
	;; [unrolled: 1-line block ×5, first 2 shown]
	ds_read2st64_b64 v[39:42], v36 offset0:13 offset1:14
	ds_read_b64 v[113:114], v36 offset:7680
	s_waitcnt lgkmcnt(0)
	; wave barrier
	s_waitcnt lgkmcnt(0)
	ds_write2st64_b64 v9, v[61:62], v[47:48] offset1:4
	ds_write2st64_b64 v56, v[63:64], v[65:66] offset1:4
	;; [unrolled: 1-line block ×5, first 2 shown]
	ds_write2st64_b64 v19, v[101:102], v[79:80] offset0:8 offset1:12
	ds_write2st64_b64 v51, v[49:50], v[81:82] offset0:8 offset1:12
	;; [unrolled: 1-line block ×3, first 2 shown]
	s_waitcnt lgkmcnt(0)
	; wave barrier
	s_waitcnt lgkmcnt(0)
	global_load_dwordx4 v[45:48], v12, s[20:21] offset:448
	global_load_dwordx4 v[60:63], v13, s[20:21] offset:448
	;; [unrolled: 1-line block ×4, first 2 shown]
	v_lshlrev_b32_e32 v9, 4, v84
	global_load_dwordx4 v[12:15], v9, s[20:21] offset:448
	v_lshlrev_b32_e32 v9, 4, v86
	global_load_dwordx4 v[72:75], v9, s[20:21] offset:448
	;; [unrolled: 2-line block ×4, first 2 shown]
	ds_read2st64_b64 v[101:104], v36 offset1:8
	ds_read_b64 v[115:116], v37
	ds_read_b64 v[117:118], v38
	ds_read2st64_b64 v[105:108], v36 offset0:9 offset1:10
	ds_read2st64_b64 v[109:112], v36 offset0:11 offset1:12
	ds_read_b64 v[119:120], v35
	ds_read_b64 v[18:19], v34
	;; [unrolled: 1-line block ×5, first 2 shown]
	s_waitcnt vmcnt(7) lgkmcnt(9)
	v_mul_f64 v[9:10], v[103:104], v[47:48]
	v_mul_f64 v[37:38], v[22:23], v[47:48]
	s_waitcnt vmcnt(6) lgkmcnt(6)
	v_mul_f64 v[47:48], v[105:106], v[62:63]
	v_mul_f64 v[49:50], v[24:25], v[62:63]
	s_waitcnt vmcnt(5)
	v_mul_f64 v[6:7], v[107:108], v[66:67]
	v_fma_f64 v[62:63], v[22:23], v[45:46], v[9:10]
	v_fma_f64 v[45:46], v[103:104], v[45:46], -v[37:38]
	v_mul_f64 v[10:11], v[26:27], v[66:67]
	s_waitcnt vmcnt(3) lgkmcnt(5)
	v_mul_f64 v[37:38], v[111:112], v[14:15]
	v_mul_f64 v[14:15], v[30:31], v[14:15]
	v_fma_f64 v[103:104], v[24:25], v[60:61], v[47:48]
	v_fma_f64 v[105:106], v[105:106], v[60:61], -v[49:50]
	v_fma_f64 v[26:27], v[26:27], v[64:65], v[6:7]
	ds_read2st64_b64 v[6:9], v36 offset0:13 offset1:14
	ds_read_b64 v[60:61], v36 offset:7680
	v_mul_f64 v[22:23], v[109:110], v[70:71]
	v_mul_f64 v[24:25], v[28:29], v[70:71]
	v_fma_f64 v[107:108], v[107:108], v[64:65], -v[10:11]
	v_fma_f64 v[10:11], v[30:31], v[12:13], v[37:38]
	v_fma_f64 v[12:13], v[111:112], v[12:13], -v[14:15]
	s_waitcnt vmcnt(2) lgkmcnt(1)
	v_mul_f64 v[14:15], v[6:7], v[74:75]
	v_mul_lo_u32 v38, v93, v44
	v_mul_f64 v[30:31], v[39:40], v[74:75]
	v_fma_f64 v[121:122], v[28:29], v[68:69], v[22:23]
	v_fma_f64 v[109:110], v[109:110], v[68:69], -v[24:25]
	v_lshrrev_b32_e32 v23, 2, v38
	v_and_b32_e32 v22, 63, v38
	v_and_b32_e32 v23, 0x3f0, v23
	v_lshl_add_u32 v22, v22, 4, 0
	v_add_u32_e32 v28, s0, v23
	s_waitcnt vmcnt(1)
	v_mul_f64 v[47:48], v[8:9], v[78:79]
	ds_read_b128 v[22:25], v22 offset:8192
	ds_read_b128 v[64:67], v28 offset:1024
	v_fma_f64 v[28:29], v[39:40], v[72:73], v[14:15]
	v_add_f64 v[14:15], v[20:21], -v[62:63]
	v_fma_f64 v[36:37], v[6:7], v[72:73], -v[30:31]
	v_mul_f64 v[50:51], v[41:42], v[78:79]
	s_waitcnt lgkmcnt(0)
	v_mul_f64 v[6:7], v[24:25], v[66:67]
	s_waitcnt vmcnt(0)
	v_mul_f64 v[68:69], v[60:61], v[82:83]
	v_fma_f64 v[48:49], v[41:42], v[76:77], v[47:48]
	v_mul_f64 v[70:71], v[113:114], v[82:83]
	v_add_f64 v[82:83], v[101:102], -v[45:46]
	v_fma_f64 v[42:43], v[20:21], 2.0, -v[14:15]
	v_mul_f64 v[20:21], v[22:23], v[66:67]
	v_mul_lo_u32 v45, v94, v44
	v_fma_f64 v[6:7], v[22:23], v[64:65], -v[6:7]
	v_lshrrev_b32_e32 v22, 8, v38
	v_and_b32_e32 v22, 0x3f0, v22
	v_lshrrev_b32_e32 v46, 2, v45
	v_and_b32_e32 v46, 0x3f0, v46
	v_add_u32_e32 v22, s0, v22
	v_add_u32_e32 v46, s0, v46
	ds_read_b128 v[38:41], v22 offset:2048
	v_fma_f64 v[20:21], v[24:25], v[64:65], v[20:21]
	ds_read_b128 v[64:67], v46 offset:1024
	v_and_b32_e32 v22, 63, v45
	v_lshl_add_u32 v22, v22, 4, 0
	ds_read_b128 v[22:25], v22 offset:8192
	v_lshrrev_b32_e32 v45, 8, v45
	v_and_b32_e32 v45, 0x3f0, v45
	v_add_u32_e32 v45, s0, v45
	v_fma_f64 v[50:51], v[8:9], v[76:77], -v[50:51]
	v_fma_f64 v[62:63], v[113:114], v[80:81], v[68:69]
	v_fma_f64 v[60:61], v[60:61], v[80:81], -v[70:71]
	ds_read_b128 v[68:71], v45 offset:2048
	v_add_f64 v[8:9], v[4:5], -v[103:104]
	s_waitcnt lgkmcnt(3)
	v_mul_f64 v[30:31], v[6:7], v[40:41]
	s_waitcnt lgkmcnt(1)
	v_mul_f64 v[45:46], v[24:25], v[66:67]
	v_fma_f64 v[72:73], v[101:102], 2.0, -v[82:83]
	v_add_f64 v[102:103], v[119:120], -v[105:106]
	v_mul_f64 v[40:41], v[20:21], v[40:41]
	v_mul_lo_u32 v47, v95, v44
	v_lshlrev_b32_e32 v101, 5, v44
	v_fma_f64 v[104:105], v[4:5], 2.0, -v[8:9]
	v_fma_f64 v[74:75], v[38:39], v[20:21], v[30:31]
	v_add_f64 v[20:21], v[2:3], -v[26:27]
	v_mul_f64 v[4:5], v[22:23], v[66:67]
	v_fma_f64 v[76:77], v[22:23], v[64:65], -v[45:46]
	v_add_f64 v[30:31], v[0:1], -v[121:122]
	v_fma_f64 v[6:7], v[38:39], v[6:7], -v[40:41]
	v_add_f64 v[22:23], v[115:116], -v[107:108]
	v_add_f64 v[38:39], v[117:118], -v[109:110]
	v_mul_f64 v[40:41], v[72:73], v[74:75]
	v_fma_f64 v[26:27], v[2:3], 2.0, -v[20:21]
	v_fma_f64 v[2:3], v[24:25], v[64:65], v[4:5]
	s_waitcnt lgkmcnt(0)
	v_mul_f64 v[4:5], v[76:77], v[70:71]
	v_mul_f64 v[74:75], v[42:43], v[74:75]
	v_fma_f64 v[45:46], v[0:1], 2.0, -v[30:31]
	v_fma_f64 v[24:25], v[115:116], 2.0, -v[22:23]
	;; [unrolled: 1-line block ×3, first 2 shown]
	v_fma_f64 v[0:1], v[42:43], v[6:7], v[40:41]
	v_fma_f64 v[116:117], v[117:118], 2.0, -v[38:39]
	v_mul_f64 v[70:71], v[2:3], v[70:71]
	v_fma_f64 v[4:5], v[68:69], v[2:3], v[4:5]
	v_and_b32_e32 v2, 63, v47
	v_lshrrev_b32_e32 v3, 2, v47
	v_lshl_add_u32 v2, v2, 4, 0
	v_and_b32_e32 v3, 0x3f0, v3
	v_add_u32_e32 v3, s0, v3
	ds_read_b128 v[40:43], v2 offset:8192
	ds_read_b128 v[64:67], v3 offset:1024
	v_fma_f64 v[2:3], v[72:73], v[6:7], -v[74:75]
	v_mul_f64 v[108:109], v[82:83], v[4:5]
	v_mul_f64 v[110:111], v[14:15], v[4:5]
	v_lshrrev_b32_e32 v4, 8, v47
	v_and_b32_e32 v4, 0x3f0, v4
	v_add_u32_e32 v5, v47, v101
	v_add_u32_e32 v4, s0, v4
	v_and_b32_e32 v47, 63, v5
	v_fma_f64 v[6:7], v[68:69], v[76:77], -v[70:71]
	s_waitcnt lgkmcnt(0)
	v_mul_f64 v[112:113], v[42:43], v[66:67]
	v_mul_f64 v[114:115], v[40:41], v[66:67]
	v_lshl_add_u32 v47, v47, 4, 0
	ds_read_b128 v[66:69], v4 offset:2048
	ds_read_b128 v[70:73], v47 offset:8192
	v_lshrrev_b32_e32 v4, 2, v5
	v_and_b32_e32 v4, 0x3f0, v4
	v_add_u32_e32 v4, s0, v4
	ds_read_b128 v[74:77], v4 offset:1024
	v_lshrrev_b32_e32 v4, 8, v5
	v_and_b32_e32 v4, 0x3f0, v4
	v_add_u32_e32 v4, s0, v4
	ds_read_b128 v[78:81], v4 offset:2048
	s_waitcnt lgkmcnt(1)
	v_mul_f64 v[119:120], v[72:73], v[76:77]
	v_mul_f64 v[76:77], v[70:71], v[76:77]
	v_fma_f64 v[4:5], v[14:15], v[6:7], v[108:109]
	v_fma_f64 v[14:15], v[40:41], v[64:65], -v[112:113]
	v_mul_lo_u32 v47, v97, v44
	v_fma_f64 v[64:65], v[42:43], v[64:65], v[114:115]
	v_fma_f64 v[6:7], v[82:83], v[6:7], -v[110:111]
	v_add_f64 v[42:43], v[16:17], -v[10:11]
	v_fma_f64 v[82:83], v[70:71], v[74:75], -v[119:120]
	v_fma_f64 v[108:109], v[72:73], v[74:75], v[76:77]
	v_and_b32_e32 v40, 63, v47
	v_lshrrev_b32_e32 v41, 2, v47
	v_lshl_add_u32 v40, v40, 4, 0
	v_and_b32_e32 v41, 0x3f0, v41
	v_add_u32_e32 v41, s0, v41
	ds_read_b128 v[70:73], v40 offset:8192
	ds_read_b128 v[74:77], v41 offset:1024
	v_mul_f64 v[110:111], v[64:65], v[68:69]
	v_mul_f64 v[68:69], v[14:15], v[68:69]
	s_waitcnt lgkmcnt(2)
	v_mul_f64 v[112:113], v[108:109], v[80:81]
	v_mul_f64 v[80:81], v[82:83], v[80:81]
	s_waitcnt lgkmcnt(0)
	v_mul_f64 v[114:115], v[72:73], v[76:77]
	v_lshrrev_b32_e32 v10, 8, v47
	v_add_u32_e32 v47, v47, v101
	v_and_b32_e32 v10, 0x3f0, v10
	v_fma_f64 v[14:15], v[66:67], v[14:15], -v[110:111]
	v_fma_f64 v[110:111], v[66:67], v[64:65], v[68:69]
	v_lshrrev_b32_e32 v68, 2, v47
	v_and_b32_e32 v68, 0x3f0, v68
	v_mul_f64 v[76:77], v[70:71], v[76:77]
	v_add_u32_e32 v10, s0, v10
	v_add_u32_e32 v68, s0, v68
	v_fma_f64 v[82:83], v[78:79], v[82:83], -v[112:113]
	v_fma_f64 v[78:79], v[78:79], v[108:109], v[80:81]
	v_fma_f64 v[80:81], v[70:71], v[74:75], -v[114:115]
	ds_read_b128 v[64:67], v10 offset:2048
	ds_read_b128 v[68:71], v68 offset:1024
	v_and_b32_e32 v10, 63, v47
	v_lshl_add_u32 v10, v10, 4, 0
	v_add_f64 v[40:41], v[18:19], -v[12:13]
	ds_read_b128 v[10:13], v10 offset:8192
	v_lshrrev_b32_e32 v47, 8, v47
	v_and_b32_e32 v47, 0x3f0, v47
	v_add_u32_e32 v47, s0, v47
	v_fma_f64 v[108:109], v[72:73], v[74:75], v[76:77]
	ds_read_b128 v[72:75], v47 offset:2048
	s_waitcnt lgkmcnt(1)
	v_mul_f64 v[112:113], v[12:13], v[70:71]
	v_mul_f64 v[76:77], v[80:81], v[66:67]
	;; [unrolled: 1-line block ×3, first 2 shown]
	v_mul_lo_u32 v47, v99, v44
	v_mul_f64 v[114:115], v[106:107], v[110:111]
	v_mul_f64 v[110:111], v[104:105], v[110:111]
	;; [unrolled: 1-line block ×4, first 2 shown]
	v_fma_f64 v[112:113], v[10:11], v[68:69], -v[112:113]
	v_and_b32_e32 v10, 63, v47
	v_lshrrev_b32_e32 v11, 2, v47
	v_lshl_add_u32 v10, v10, 4, 0
	v_and_b32_e32 v11, 0x3f0, v11
	v_fma_f64 v[122:123], v[64:65], v[108:109], v[76:77]
	v_fma_f64 v[124:125], v[12:13], v[68:69], v[70:71]
	v_add_u32_e32 v11, s0, v11
	ds_read_b128 v[68:71], v10 offset:8192
	ds_read_b128 v[76:79], v11 offset:1024
	v_mul_f64 v[66:67], v[108:109], v[66:67]
	v_fma_f64 v[12:13], v[104:105], v[14:15], v[114:115]
	v_fma_f64 v[14:15], v[106:107], v[14:15], -v[110:111]
	v_fma_f64 v[8:9], v[8:9], v[82:83], v[118:119]
	s_waitcnt lgkmcnt(0)
	v_mul_f64 v[106:107], v[70:71], v[78:79]
	v_mul_f64 v[78:79], v[68:69], v[78:79]
	v_fma_f64 v[10:11], v[102:103], v[82:83], -v[120:121]
	v_mul_f64 v[104:105], v[112:113], v[74:75]
	v_fma_f64 v[82:83], v[64:65], v[80:81], -v[66:67]
	v_lshrrev_b32_e32 v64, 8, v47
	v_add_u32_e32 v47, v47, v101
	v_mul_f64 v[108:109], v[124:125], v[74:75]
	v_lshrrev_b32_e32 v74, 2, v47
	v_fma_f64 v[106:107], v[68:69], v[76:77], -v[106:107]
	v_and_b32_e32 v68, 63, v47
	v_and_b32_e32 v74, 0x3f0, v74
	v_lshl_add_u32 v68, v68, 4, 0
	v_add_u32_e32 v74, s0, v74
	v_fma_f64 v[110:111], v[70:71], v[76:77], v[78:79]
	ds_read_b128 v[68:71], v68 offset:8192
	ds_read_b128 v[74:77], v74 offset:1024
	v_and_b32_e32 v64, 0x3f0, v64
	v_add_u32_e32 v64, s0, v64
	ds_read_b128 v[64:67], v64 offset:2048
	v_lshrrev_b32_e32 v47, 8, v47
	s_waitcnt lgkmcnt(1)
	v_mul_f64 v[118:119], v[70:71], v[76:77]
	v_and_b32_e32 v47, 0x3f0, v47
	v_add_u32_e32 v47, s0, v47
	ds_read_b128 v[78:81], v47 offset:2048
	v_mul_f64 v[102:103], v[24:25], v[122:123]
	v_fma_f64 v[104:105], v[72:73], v[124:125], v[104:105]
	s_waitcnt lgkmcnt(1)
	v_mul_f64 v[114:115], v[106:107], v[66:67]
	v_fma_f64 v[124:125], v[18:19], 2.0, -v[40:41]
	v_mul_f64 v[18:19], v[110:111], v[66:67]
	v_mul_f64 v[66:67], v[68:69], v[76:77]
	v_fma_f64 v[76:77], v[68:69], v[74:75], -v[118:119]
	v_mul_lo_u32 v47, v84, v44
	v_fma_f64 v[120:121], v[16:17], 2.0, -v[42:43]
	v_fma_f64 v[16:17], v[26:27], v[82:83], v[102:103]
	v_fma_f64 v[102:103], v[64:65], v[110:111], v[114:115]
	v_mul_f64 v[26:27], v[26:27], v[122:123]
	v_fma_f64 v[106:107], v[64:65], v[106:107], -v[18:19]
	v_fma_f64 v[18:19], v[70:71], v[74:75], v[66:67]
	s_waitcnt lgkmcnt(0)
	v_mul_f64 v[74:75], v[76:77], v[80:81]
	v_lshrrev_b32_e32 v65, 2, v47
	v_and_b32_e32 v64, 63, v47
	v_and_b32_e32 v65, 0x3f0, v65
	v_lshl_add_u32 v64, v64, 4, 0
	v_add_u32_e32 v68, s0, v65
	ds_read_b128 v[64:67], v64 offset:8192
	ds_read_b128 v[68:71], v68 offset:1024
	v_fma_f64 v[72:73], v[72:73], v[112:113], -v[108:109]
	v_mul_f64 v[108:109], v[22:23], v[104:105]
	v_mul_f64 v[110:111], v[116:117], v[102:103]
	;; [unrolled: 1-line block ×3, first 2 shown]
	v_fma_f64 v[74:75], v[78:79], v[18:19], v[74:75]
	v_fma_f64 v[18:19], v[24:25], v[82:83], -v[26:27]
	s_waitcnt lgkmcnt(0)
	v_mul_f64 v[82:83], v[66:67], v[70:71]
	v_mul_f64 v[104:105], v[20:21], v[104:105]
	;; [unrolled: 1-line block ×3, first 2 shown]
	v_fma_f64 v[24:25], v[20:21], v[72:73], v[108:109]
	v_fma_f64 v[20:21], v[45:46], v[106:107], v[110:111]
	v_mul_f64 v[110:111], v[64:65], v[70:71]
	v_fma_f64 v[45:46], v[78:79], v[76:77], -v[80:81]
	v_mul_f64 v[108:109], v[30:31], v[74:75]
	v_fma_f64 v[82:83], v[64:65], v[68:69], -v[82:83]
	v_lshrrev_b32_e32 v64, 8, v47
	v_and_b32_e32 v64, 0x3f0, v64
	v_add_u32_e32 v47, v47, v101
	v_add_u32_e32 v64, s0, v64
	v_and_b32_e32 v65, 63, v47
	v_fma_f64 v[26:27], v[22:23], v[72:73], -v[104:105]
	v_fma_f64 v[22:23], v[116:117], v[106:107], -v[102:103]
	v_mul_f64 v[106:107], v[38:39], v[74:75]
	v_lshl_add_u32 v65, v65, 4, 0
	ds_read_b128 v[70:73], v64 offset:2048
	ds_read_b128 v[74:77], v65 offset:8192
	v_lshrrev_b32_e32 v64, 2, v47
	v_and_b32_e32 v64, 0x3f0, v64
	v_add_u32_e32 v64, s0, v64
	ds_read_b128 v[78:81], v64 offset:1024
	v_lshrrev_b32_e32 v47, 8, v47
	v_and_b32_e32 v47, 0x3f0, v47
	v_add_u32_e32 v47, s0, v47
	ds_read_b128 v[102:105], v47 offset:2048
	s_waitcnt lgkmcnt(1)
	v_mul_f64 v[112:113], v[76:77], v[80:81]
	v_mul_f64 v[80:81], v[74:75], v[80:81]
	v_add_f64 v[64:65], v[32:33], -v[28:29]
	v_fma_f64 v[28:29], v[30:31], v[45:46], v[106:107]
	v_fma_f64 v[30:31], v[38:39], v[45:46], -v[108:109]
	v_fma_f64 v[38:39], v[66:67], v[68:69], v[110:111]
	v_mul_lo_u32 v47, v86, v44
	v_mul_f64 v[45:46], v[82:83], v[72:73]
	v_fma_f64 v[68:69], v[74:75], v[78:79], -v[112:113]
	v_fma_f64 v[106:107], v[76:77], v[78:79], v[80:81]
	v_and_b32_e32 v66, 63, v47
	v_lshrrev_b32_e32 v67, 2, v47
	v_lshl_add_u32 v66, v66, 4, 0
	v_and_b32_e32 v67, 0x3f0, v67
	v_add_u32_e32 v67, s0, v67
	ds_read_b128 v[74:77], v66 offset:8192
	ds_read_b128 v[78:81], v67 offset:1024
	v_mul_f64 v[72:73], v[38:39], v[72:73]
	v_fma_f64 v[45:46], v[70:71], v[38:39], v[45:46]
	s_waitcnt lgkmcnt(2)
	v_mul_f64 v[38:39], v[106:107], v[104:105]
	v_mul_f64 v[104:105], v[68:69], v[104:105]
	s_waitcnt lgkmcnt(0)
	v_mul_f64 v[108:109], v[76:77], v[80:81]
	v_add_f64 v[66:67], v[34:35], -v[36:37]
	v_lshrrev_b32_e32 v36, 8, v47
	v_add_u32_e32 v47, v47, v101
	v_fma_f64 v[110:111], v[32:33], 2.0, -v[64:65]
	v_fma_f64 v[32:33], v[70:71], v[82:83], -v[72:73]
	v_lshrrev_b32_e32 v72, 2, v47
	v_and_b32_e32 v36, 0x3f0, v36
	v_and_b32_e32 v72, 0x3f0, v72
	v_mul_f64 v[80:81], v[74:75], v[80:81]
	v_add_u32_e32 v36, s0, v36
	v_add_u32_e32 v72, s0, v72
	v_fma_f64 v[114:115], v[102:103], v[68:69], -v[38:39]
	v_fma_f64 v[82:83], v[102:103], v[106:107], v[104:105]
	v_fma_f64 v[102:103], v[74:75], v[78:79], -v[108:109]
	ds_read_b128 v[68:71], v36 offset:2048
	ds_read_b128 v[72:75], v72 offset:1024
	v_and_b32_e32 v36, 63, v47
	v_lshl_add_u32 v36, v36, 4, 0
	ds_read_b128 v[36:39], v36 offset:8192
	v_lshrrev_b32_e32 v47, 8, v47
	v_and_b32_e32 v47, 0x3f0, v47
	v_add_u32_e32 v47, s0, v47
	v_fma_f64 v[80:81], v[76:77], v[78:79], v[80:81]
	ds_read_b128 v[76:79], v47 offset:2048
	s_waitcnt lgkmcnt(1)
	v_mul_f64 v[106:107], v[38:39], v[74:75]
	v_mul_f64 v[104:105], v[102:103], v[70:71]
	;; [unrolled: 1-line block ×3, first 2 shown]
	v_mul_lo_u32 v47, v88, v44
	v_mul_f64 v[112:113], v[124:125], v[45:46]
	v_mul_f64 v[45:46], v[120:121], v[45:46]
	;; [unrolled: 1-line block ×4, first 2 shown]
	v_fma_f64 v[106:107], v[36:37], v[72:73], -v[106:107]
	v_and_b32_e32 v36, 63, v47
	v_lshrrev_b32_e32 v37, 2, v47
	v_lshl_add_u32 v36, v36, 4, 0
	v_and_b32_e32 v37, 0x3f0, v37
	v_fma_f64 v[104:105], v[68:69], v[80:81], v[104:105]
	v_mul_f64 v[118:119], v[80:81], v[70:71]
	v_fma_f64 v[74:75], v[38:39], v[72:73], v[74:75]
	v_add_u32_e32 v37, s0, v37
	ds_read_b128 v[70:73], v36 offset:8192
	ds_read_b128 v[80:83], v37 offset:1024
	v_fma_f64 v[36:37], v[120:121], v[32:33], v[112:113]
	v_fma_f64 v[38:39], v[124:125], v[32:33], -v[45:46]
	v_fma_f64 v[32:33], v[42:43], v[114:115], v[108:109]
	v_fma_f64 v[122:123], v[34:35], 2.0, -v[66:67]
	s_waitcnt lgkmcnt(0)
	v_mul_f64 v[42:43], v[72:73], v[82:83]
	v_mul_f64 v[45:46], v[70:71], v[82:83]
	v_fma_f64 v[34:35], v[40:41], v[114:115], -v[116:117]
	v_fma_f64 v[68:69], v[68:69], v[102:103], -v[118:119]
	v_mul_f64 v[82:83], v[110:111], v[104:105]
	v_mul_f64 v[102:103], v[74:75], v[78:79]
	v_mul_lo_u32 v118, v90, v44
	v_mul_f64 v[40:41], v[122:123], v[104:105]
	v_fma_f64 v[108:109], v[70:71], v[80:81], -v[42:43]
	v_fma_f64 v[45:46], v[72:73], v[80:81], v[45:46]
	v_lshrrev_b32_e32 v42, 8, v47
	v_and_b32_e32 v42, 0x3f0, v42
	v_add_u32_e32 v42, s0, v42
	ds_read_b128 v[70:73], v42 offset:2048
	v_mul_f64 v[104:105], v[106:107], v[78:79]
	v_add_u32_e32 v47, v47, v101
	v_and_b32_e32 v42, 63, v47
	v_lshl_add_u32 v42, v42, 4, 0
	s_waitcnt lgkmcnt(0)
	v_mul_f64 v[112:113], v[45:46], v[72:73]
	v_mul_f64 v[72:73], v[108:109], v[72:73]
	ds_read_b128 v[78:81], v42 offset:8192
	v_fma_f64 v[40:41], v[110:111], v[68:69], v[40:41]
	v_fma_f64 v[42:43], v[122:123], v[68:69], -v[82:83]
	v_fma_f64 v[114:115], v[76:77], v[106:107], -v[102:103]
	v_fma_f64 v[116:117], v[76:77], v[74:75], v[104:105]
	v_lshrrev_b32_e32 v44, 8, v47
	v_fma_f64 v[68:69], v[70:71], v[108:109], -v[112:113]
	v_fma_f64 v[70:71], v[70:71], v[45:46], v[72:73]
	v_lshrrev_b32_e32 v45, 2, v47
	v_and_b32_e32 v45, 0x3f0, v45
	v_add_u32_e32 v45, s0, v45
	ds_read_b128 v[102:105], v45 offset:1024
	v_and_b32_e32 v45, 63, v118
	v_lshrrev_b32_e32 v46, 2, v118
	v_lshl_add_u32 v45, v45, 4, 0
	v_and_b32_e32 v46, 0x3f0, v46
	v_add_u32_e32 v46, s0, v46
	ds_read_b128 v[106:109], v45 offset:8192
	ds_read_b128 v[110:113], v46 offset:1024
	s_waitcnt lgkmcnt(2)
	v_mul_f64 v[76:77], v[80:81], v[104:105]
	v_mul_f64 v[82:83], v[78:79], v[104:105]
	v_add_f64 v[72:73], v[54:55], -v[48:49]
	v_lshrrev_b32_e32 v48, 8, v118
	s_waitcnt lgkmcnt(0)
	v_mul_f64 v[104:105], v[108:109], v[112:113]
	v_mul_f64 v[112:113], v[106:107], v[112:113]
	v_and_b32_e32 v44, 0x3f0, v44
	v_and_b32_e32 v48, 0x3f0, v48
	v_fma_f64 v[78:79], v[78:79], v[102:103], -v[76:77]
	v_fma_f64 v[82:83], v[80:81], v[102:103], v[82:83]
	v_add_u32_e32 v44, s0, v44
	v_add_u32_e32 v48, s0, v48
	v_fma_f64 v[76:77], v[106:107], v[110:111], -v[104:105]
	v_fma_f64 v[80:81], v[108:109], v[110:111], v[112:113]
	v_add_u32_e32 v109, v118, v101
	v_lshrrev_b32_e32 v105, 2, v109
	v_and_b32_e32 v49, 63, v109
	v_and_b32_e32 v105, 0x3f0, v105
	v_lshl_add_u32 v101, v49, 4, 0
	v_add_u32_e32 v105, s0, v105
	ds_read_b128 v[44:47], v44 offset:2048
	v_add_f64 v[74:75], v[58:59], -v[50:51]
	ds_read_b128 v[48:51], v48 offset:2048
	ds_read_b128 v[101:104], v101 offset:8192
	;; [unrolled: 1-line block ×3, first 2 shown]
	v_lshrrev_b32_e32 v109, 8, v109
	v_and_b32_e32 v109, 0x3f0, v109
	v_add_u32_e32 v109, s0, v109
	ds_read_b128 v[109:112], v109 offset:2048
	v_add_f64 v[62:63], v[52:53], -v[62:63]
	s_waitcnt lgkmcnt(1)
	v_mul_f64 v[118:119], v[103:104], v[107:108]
	v_mul_f64 v[107:108], v[101:102], v[107:108]
	v_add_f64 v[122:123], v[56:57], -v[60:61]
	v_fma_f64 v[120:121], v[54:55], 2.0, -v[72:73]
	v_fma_f64 v[58:59], v[58:59], 2.0, -v[74:75]
	v_mul_f64 v[54:55], v[64:65], v[116:117]
	s_mov_b32 s0, s10
	v_fma_f64 v[60:61], v[52:53], 2.0, -v[62:63]
	v_mul_f64 v[52:53], v[66:67], v[116:117]
	v_fma_f64 v[101:102], v[101:102], v[105:106], -v[118:119]
	v_fma_f64 v[103:104], v[103:104], v[105:106], v[107:108]
	v_mul_f64 v[105:106], v[78:79], v[46:47]
	v_fma_f64 v[116:117], v[56:57], 2.0, -v[122:123]
	v_mul_f64 v[56:57], v[76:77], v[50:51]
	v_mul_f64 v[107:108], v[58:59], v[70:71]
	v_fma_f64 v[54:55], v[66:67], v[114:115], -v[54:55]
	v_fma_f64 v[52:53], v[64:65], v[114:115], v[52:53]
	v_mul_f64 v[64:65], v[82:83], v[46:47]
	s_waitcnt lgkmcnt(0)
	v_mul_f64 v[66:67], v[101:102], v[111:112]
	v_fma_f64 v[82:83], v[44:45], v[82:83], v[105:106]
	v_mul_f64 v[50:51], v[80:81], v[50:51]
	v_fma_f64 v[56:57], v[48:49], v[80:81], v[56:57]
	;; [unrolled: 2-line block ×3, first 2 shown]
	v_fma_f64 v[44:45], v[44:45], v[78:79], -v[64:65]
	v_mul_f64 v[64:65], v[103:104], v[111:112]
	v_mul_f64 v[78:79], v[74:75], v[82:83]
	;; [unrolled: 1-line block ×3, first 2 shown]
	v_fma_f64 v[66:67], v[109:110], v[103:104], v[66:67]
	v_fma_f64 v[50:51], v[48:49], v[76:77], -v[50:51]
	v_mul_f64 v[76:77], v[116:117], v[56:57]
	v_fma_f64 v[48:49], v[58:59], v[68:69], -v[70:71]
	v_mul_f64 v[68:69], v[60:61], v[56:57]
	v_fma_f64 v[70:71], v[109:110], v[101:102], -v[64:65]
	v_fma_f64 v[56:57], v[72:73], v[44:45], v[78:79]
	v_fma_f64 v[58:59], v[74:75], v[44:45], -v[80:81]
	v_mul_lo_u32 v44, s12, v92
	v_mul_lo_u32 v45, s4, v93
	v_mul_f64 v[82:83], v[122:123], v[66:67]
	v_mul_f64 v[101:102], v[62:63], v[66:67]
	v_fma_f64 v[64:65], v[60:61], v[50:51], v[76:77]
	v_fma_f64 v[66:67], v[116:117], v[50:51], -v[68:69]
	v_mul_lo_u32 v50, s4, v94
	v_add_lshl_u32 v45, v44, v45, 4
	v_cndmask_b32_e32 v45, -1, v45, vcc
	buffer_store_dwordx4 v[0:3], v45, s[0:3], s5 offen
	v_add_lshl_u32 v0, v44, v50, 4
	v_cndmask_b32_e32 v0, -1, v0, vcc
	v_mul_lo_u32 v1, s4, v95
	buffer_store_dwordx4 v[4:7], v0, s[0:3], s5 offen
	v_mul_lo_u32 v0, s4, v96
	v_fma_f64 v[60:61], v[62:63], v[70:71], v[82:83]
	v_add_lshl_u32 v1, v44, v1, 4
	v_cndmask_b32_e32 v1, -1, v1, vcc
	v_add_lshl_u32 v0, v44, v0, 4
	v_cndmask_b32_e32 v0, -1, v0, vcc
	buffer_store_dwordx4 v[12:15], v1, s[0:3], s5 offen
	v_mul_lo_u32 v1, s4, v97
	buffer_store_dwordx4 v[8:11], v0, s[0:3], s5 offen
	v_mul_lo_u32 v0, s4, v98
	v_fma_f64 v[62:63], v[122:123], v[70:71], -v[101:102]
	v_add_lshl_u32 v1, v44, v1, 4
	v_cndmask_b32_e32 v1, -1, v1, vcc
	v_add_lshl_u32 v0, v44, v0, 4
	v_cndmask_b32_e32 v0, -1, v0, vcc
	buffer_store_dwordx4 v[16:19], v1, s[0:3], s5 offen
	v_mul_lo_u32 v1, s4, v99
	buffer_store_dwordx4 v[24:27], v0, s[0:3], s5 offen
	v_mul_lo_u32 v0, s4, v100
	v_add_lshl_u32 v1, v44, v1, 4
	v_cndmask_b32_e32 v1, -1, v1, vcc
	v_add_lshl_u32 v0, v44, v0, 4
	v_cndmask_b32_e32 v0, -1, v0, vcc
	buffer_store_dwordx4 v[20:23], v1, s[0:3], s5 offen
	v_mul_lo_u32 v1, s4, v84
	buffer_store_dwordx4 v[28:31], v0, s[0:3], s5 offen
	v_mul_lo_u32 v0, s4, v85
	;; [unrolled: 8-line block ×5, first 2 shown]
	v_add_lshl_u32 v1, v44, v1, 4
	v_cndmask_b32_e32 v1, -1, v1, vcc
	v_add_lshl_u32 v0, v44, v0, 4
	v_cndmask_b32_e32 v0, -1, v0, vcc
	buffer_store_dwordx4 v[64:67], v1, s[0:3], s5 offen
	buffer_store_dwordx4 v[60:63], v0, s[0:3], s5 offen
	s_endpgm
	.section	.rodata,"a",@progbits
	.p2align	6, 0x0
	.amdhsa_kernel fft_rtc_back_len64_factors_4_4_2_2_wgs_64_tpt_4_halfLds_dim2_dp_op_CI_CI_sbcc_twdbase6_3step_dirReg_intrinsicReadWrite
		.amdhsa_group_segment_fixed_size 0
		.amdhsa_private_segment_fixed_size 0
		.amdhsa_kernarg_size 104
		.amdhsa_user_sgpr_count 6
		.amdhsa_user_sgpr_private_segment_buffer 1
		.amdhsa_user_sgpr_dispatch_ptr 0
		.amdhsa_user_sgpr_queue_ptr 0
		.amdhsa_user_sgpr_kernarg_segment_ptr 1
		.amdhsa_user_sgpr_dispatch_id 0
		.amdhsa_user_sgpr_flat_scratch_init 0
		.amdhsa_user_sgpr_private_segment_size 0
		.amdhsa_uses_dynamic_stack 0
		.amdhsa_system_sgpr_private_segment_wavefront_offset 0
		.amdhsa_system_sgpr_workgroup_id_x 1
		.amdhsa_system_sgpr_workgroup_id_y 0
		.amdhsa_system_sgpr_workgroup_id_z 0
		.amdhsa_system_sgpr_workgroup_info 0
		.amdhsa_system_vgpr_workitem_id 0
		.amdhsa_next_free_vgpr 126
		.amdhsa_next_free_sgpr 28
		.amdhsa_reserve_vcc 1
		.amdhsa_reserve_flat_scratch 0
		.amdhsa_float_round_mode_32 0
		.amdhsa_float_round_mode_16_64 0
		.amdhsa_float_denorm_mode_32 3
		.amdhsa_float_denorm_mode_16_64 3
		.amdhsa_dx10_clamp 1
		.amdhsa_ieee_mode 1
		.amdhsa_fp16_overflow 0
		.amdhsa_exception_fp_ieee_invalid_op 0
		.amdhsa_exception_fp_denorm_src 0
		.amdhsa_exception_fp_ieee_div_zero 0
		.amdhsa_exception_fp_ieee_overflow 0
		.amdhsa_exception_fp_ieee_underflow 0
		.amdhsa_exception_fp_ieee_inexact 0
		.amdhsa_exception_int_div_zero 0
	.end_amdhsa_kernel
	.text
.Lfunc_end0:
	.size	fft_rtc_back_len64_factors_4_4_2_2_wgs_64_tpt_4_halfLds_dim2_dp_op_CI_CI_sbcc_twdbase6_3step_dirReg_intrinsicReadWrite, .Lfunc_end0-fft_rtc_back_len64_factors_4_4_2_2_wgs_64_tpt_4_halfLds_dim2_dp_op_CI_CI_sbcc_twdbase6_3step_dirReg_intrinsicReadWrite
                                        ; -- End function
	.section	.AMDGPU.csdata,"",@progbits
; Kernel info:
; codeLenInByte = 8328
; NumSgprs: 32
; NumVgprs: 126
; ScratchSize: 0
; MemoryBound: 0
; FloatMode: 240
; IeeeMode: 1
; LDSByteSize: 0 bytes/workgroup (compile time only)
; SGPRBlocks: 3
; VGPRBlocks: 31
; NumSGPRsForWavesPerEU: 32
; NumVGPRsForWavesPerEU: 126
; Occupancy: 2
; WaveLimiterHint : 0
; COMPUTE_PGM_RSRC2:SCRATCH_EN: 0
; COMPUTE_PGM_RSRC2:USER_SGPR: 6
; COMPUTE_PGM_RSRC2:TRAP_HANDLER: 0
; COMPUTE_PGM_RSRC2:TGID_X_EN: 1
; COMPUTE_PGM_RSRC2:TGID_Y_EN: 0
; COMPUTE_PGM_RSRC2:TGID_Z_EN: 0
; COMPUTE_PGM_RSRC2:TIDIG_COMP_CNT: 0
	.type	__hip_cuid_c11f1426b71aaef4,@object ; @__hip_cuid_c11f1426b71aaef4
	.section	.bss,"aw",@nobits
	.globl	__hip_cuid_c11f1426b71aaef4
__hip_cuid_c11f1426b71aaef4:
	.byte	0                               ; 0x0
	.size	__hip_cuid_c11f1426b71aaef4, 1

	.ident	"AMD clang version 19.0.0git (https://github.com/RadeonOpenCompute/llvm-project roc-6.4.0 25133 c7fe45cf4b819c5991fe208aaa96edf142730f1d)"
	.section	".note.GNU-stack","",@progbits
	.addrsig
	.addrsig_sym __hip_cuid_c11f1426b71aaef4
	.amdgpu_metadata
---
amdhsa.kernels:
  - .args:
      - .actual_access:  read_only
        .address_space:  global
        .offset:         0
        .size:           8
        .value_kind:     global_buffer
      - .address_space:  global
        .offset:         8
        .size:           8
        .value_kind:     global_buffer
      - .actual_access:  read_only
        .address_space:  global
        .offset:         16
        .size:           8
        .value_kind:     global_buffer
      - .actual_access:  read_only
        .address_space:  global
        .offset:         24
        .size:           8
        .value_kind:     global_buffer
      - .actual_access:  read_only
        .address_space:  global
        .offset:         32
        .size:           8
        .value_kind:     global_buffer
      - .offset:         40
        .size:           8
        .value_kind:     by_value
      - .actual_access:  read_only
        .address_space:  global
        .offset:         48
        .size:           8
        .value_kind:     global_buffer
      - .actual_access:  read_only
        .address_space:  global
        .offset:         56
        .size:           8
        .value_kind:     global_buffer
      - .offset:         64
        .size:           4
        .value_kind:     by_value
      - .actual_access:  read_only
        .address_space:  global
        .offset:         72
        .size:           8
        .value_kind:     global_buffer
      - .actual_access:  read_only
        .address_space:  global
        .offset:         80
        .size:           8
        .value_kind:     global_buffer
      - .address_space:  global
        .offset:         88
        .size:           8
        .value_kind:     global_buffer
      - .address_space:  global
        .offset:         96
        .size:           8
        .value_kind:     global_buffer
    .group_segment_fixed_size: 0
    .kernarg_segment_align: 8
    .kernarg_segment_size: 104
    .language:       OpenCL C
    .language_version:
      - 2
      - 0
    .max_flat_workgroup_size: 64
    .name:           fft_rtc_back_len64_factors_4_4_2_2_wgs_64_tpt_4_halfLds_dim2_dp_op_CI_CI_sbcc_twdbase6_3step_dirReg_intrinsicReadWrite
    .private_segment_fixed_size: 0
    .sgpr_count:     32
    .sgpr_spill_count: 0
    .symbol:         fft_rtc_back_len64_factors_4_4_2_2_wgs_64_tpt_4_halfLds_dim2_dp_op_CI_CI_sbcc_twdbase6_3step_dirReg_intrinsicReadWrite.kd
    .uniform_work_group_size: 1
    .uses_dynamic_stack: false
    .vgpr_count:     126
    .vgpr_spill_count: 0
    .wavefront_size: 64
amdhsa.target:   amdgcn-amd-amdhsa--gfx906
amdhsa.version:
  - 1
  - 2
...

	.end_amdgpu_metadata
